;; amdgpu-corpus repo=ROCm/rocFFT kind=compiled arch=gfx1030 opt=O3
	.text
	.amdgcn_target "amdgcn-amd-amdhsa--gfx1030"
	.amdhsa_code_object_version 6
	.protected	bluestein_single_back_len1120_dim1_dp_op_CI_CI ; -- Begin function bluestein_single_back_len1120_dim1_dp_op_CI_CI
	.globl	bluestein_single_back_len1120_dim1_dp_op_CI_CI
	.p2align	8
	.type	bluestein_single_back_len1120_dim1_dp_op_CI_CI,@function
bluestein_single_back_len1120_dim1_dp_op_CI_CI: ; @bluestein_single_back_len1120_dim1_dp_op_CI_CI
; %bb.0:
	s_load_dwordx4 s[8:11], s[4:5], 0x28
	v_mul_u32_u24_e32 v1, 0x125, v0
	v_mov_b32_e32 v101, 0
	s_mov_b32 s0, exec_lo
	v_lshrrev_b32_e32 v1, 16, v1
	v_add_nc_u32_e32 v100, s6, v1
	s_waitcnt lgkmcnt(0)
	v_cmpx_gt_u64_e64 s[8:9], v[100:101]
	s_cbranch_execz .LBB0_55
; %bb.1:
	s_clause 0x1
	s_load_dwordx4 s[0:3], s[4:5], 0x18
	s_load_dwordx2 s[6:7], s[4:5], 0x0
	v_mul_lo_u16 v1, 0xe0, v1
	v_sub_nc_u16 v50, v0, v1
	v_and_b32_e32 v116, 0xffff, v50
	v_lshlrev_b32_e32 v113, 4, v116
	s_waitcnt lgkmcnt(0)
	s_load_dwordx4 s[12:15], s[0:1], 0x0
	v_add_co_u32 v114, s0, s6, v113
	v_add_co_ci_u32_e64 v115, null, s7, 0, s0
	global_load_dwordx4 v[0:3], v113, s[6:7]
	v_add_co_u32 v4, vcc_lo, 0x2000, v114
	v_add_co_ci_u32_e32 v5, vcc_lo, 0, v115, vcc_lo
	v_add_co_u32 v12, vcc_lo, 0x800, v114
	v_add_co_ci_u32_e32 v13, vcc_lo, 0, v115, vcc_lo
	v_add_co_u32 v30, vcc_lo, 0x3000, v114
	v_add_co_ci_u32_e32 v31, vcc_lo, 0, v115, vcc_lo
	s_waitcnt lgkmcnt(0)
	v_mad_u64_u32 v[8:9], null, s14, v100, 0
	v_mad_u64_u32 v[10:11], null, s12, v116, 0
	s_mul_i32 s1, s13, 0x230
	s_mul_hi_u32 s7, s12, 0x230
	s_mul_i32 s0, s12, 0x230
	s_mul_hi_u32 s9, s12, 0xfffffeb0
	v_mov_b32_e32 v6, v9
	s_add_i32 s1, s7, s1
	v_mov_b32_e32 v7, v11
	s_mul_i32 s8, s13, 0xfffffeb0
	s_mul_i32 s6, s12, 0xfffffeb0
	s_sub_i32 s7, s9, s12
	v_mad_u64_u32 v[14:15], null, s15, v100, v[6:7]
	v_mad_u64_u32 v[15:16], null, s13, v116, v[7:8]
	s_lshl_b64 s[12:13], s[0:1], 4
	s_add_i32 s7, s7, s8
	global_load_dwordx4 v[4:7], v[4:5], off offset:768
	s_lshl_b64 s[0:1], s[6:7], 4
	v_mov_b32_e32 v9, v14
	v_mov_b32_e32 v11, v15
	v_lshlrev_b64 v[8:9], 4, v[8:9]
	v_lshlrev_b64 v[10:11], 4, v[10:11]
	v_add_co_u32 v8, vcc_lo, s10, v8
	v_add_co_ci_u32_e32 v9, vcc_lo, s11, v9, vcc_lo
	v_add_co_u32 v8, vcc_lo, v8, v10
	v_add_co_ci_u32_e32 v9, vcc_lo, v9, v11, vcc_lo
	;; [unrolled: 2-line block ×3, first 2 shown]
	global_load_dwordx4 v[18:21], v[8:9], off
	v_add_co_u32 v14, vcc_lo, v10, s0
	v_add_co_ci_u32_e32 v15, vcc_lo, s1, v11, vcc_lo
	v_add_co_u32 v16, vcc_lo, v14, s12
	v_add_co_ci_u32_e32 v17, vcc_lo, s13, v15, vcc_lo
	s_clause 0x1
	global_load_dwordx4 v[22:25], v[10:11], off
	global_load_dwordx4 v[26:29], v[14:15], off
	s_clause 0x1
	global_load_dwordx4 v[8:11], v[12:13], off offset:1536
	global_load_dwordx4 v[12:15], v[30:31], off offset:256
	global_load_dwordx4 v[30:33], v[16:17], off
	s_load_dwordx2 s[6:7], s[4:5], 0x38
	s_load_dwordx4 s[8:11], s[2:3], 0x0
	v_cmp_gt_u16_e32 vcc_lo, 0x70, v50
	s_waitcnt vmcnt(5)
	v_mul_f64 v[34:35], v[20:21], v[2:3]
	v_mul_f64 v[36:37], v[18:19], v[2:3]
	s_waitcnt vmcnt(4)
	v_mul_f64 v[38:39], v[24:25], v[6:7]
	v_mul_f64 v[40:41], v[22:23], v[6:7]
	;; [unrolled: 3-line block ×4, first 2 shown]
	v_fma_f64 v[18:19], v[18:19], v[0:1], v[34:35]
	v_fma_f64 v[20:21], v[20:21], v[0:1], -v[36:37]
	v_fma_f64 v[22:23], v[22:23], v[4:5], v[38:39]
	v_fma_f64 v[24:25], v[24:25], v[4:5], -v[40:41]
	;; [unrolled: 2-line block ×4, first 2 shown]
	ds_write_b128 v113, v[18:21]
	ds_write_b128 v113, v[22:25] offset:8960
	ds_write_b128 v113, v[26:29] offset:3584
	;; [unrolled: 1-line block ×3, first 2 shown]
	s_and_saveexec_b32 s2, vcc_lo
	s_cbranch_execz .LBB0_3
; %bb.2:
	v_add_co_u32 v16, s0, v16, s0
	v_add_co_ci_u32_e64 v17, s0, s1, v17, s0
	v_add_co_u32 v20, s0, 0x1800, v114
	v_add_co_ci_u32_e64 v21, s0, 0, v115, s0
	;; [unrolled: 2-line block ×4, first 2 shown]
	global_load_dwordx4 v[16:19], v[16:17], off
	s_clause 0x1
	global_load_dwordx4 v[20:23], v[20:21], off offset:1024
	global_load_dwordx4 v[24:27], v[24:25], off offset:1792
	global_load_dwordx4 v[28:31], v[28:29], off
	s_waitcnt vmcnt(2)
	v_mul_f64 v[32:33], v[18:19], v[22:23]
	v_mul_f64 v[22:23], v[16:17], v[22:23]
	s_waitcnt vmcnt(0)
	v_mul_f64 v[34:35], v[30:31], v[26:27]
	v_mul_f64 v[26:27], v[28:29], v[26:27]
	v_fma_f64 v[16:17], v[16:17], v[20:21], v[32:33]
	v_fma_f64 v[18:19], v[18:19], v[20:21], -v[22:23]
	v_fma_f64 v[20:21], v[28:29], v[24:25], v[34:35]
	v_fma_f64 v[22:23], v[30:31], v[24:25], -v[26:27]
	ds_write_b128 v113, v[16:19] offset:7168
	ds_write_b128 v113, v[20:23] offset:16128
.LBB0_3:
	s_or_b32 exec_lo, exec_lo, s2
	s_waitcnt lgkmcnt(0)
	s_barrier
	buffer_gl0_inv
	ds_read_b128 v[16:19], v113
	ds_read_b128 v[20:23], v113 offset:3584
	ds_read_b128 v[36:39], v113 offset:8960
	;; [unrolled: 1-line block ×3, first 2 shown]
                                        ; implicit-def: $vgpr28_vgpr29
                                        ; implicit-def: $vgpr32_vgpr33
	s_and_saveexec_b32 s0, vcc_lo
	s_cbranch_execz .LBB0_5
; %bb.4:
	ds_read_b128 v[28:31], v113 offset:7168
	ds_read_b128 v[32:35], v113 offset:16128
.LBB0_5:
	s_or_b32 exec_lo, exec_lo, s0
	s_waitcnt lgkmcnt(0)
	v_add_f64 v[40:41], v[20:21], -v[24:25]
	v_add_f64 v[42:43], v[22:23], -v[26:27]
	;; [unrolled: 1-line block ×6, first 2 shown]
	s_load_dwordx2 s[2:3], s[4:5], 0x8
	v_lshlrev_b32_e32 v56, 1, v116
	v_add_co_u32 v44, null, 0x1c0, v116
	v_lshlrev_b32_e32 v124, 5, v116
	s_waitcnt lgkmcnt(0)
	v_add_nc_u32_e32 v57, 0x1c0, v56
	v_lshlrev_b32_e32 v121, 5, v44
	s_barrier
	buffer_gl0_inv
	v_lshlrev_b32_e32 v123, 4, v57
	v_fma_f64 v[32:33], v[20:21], 2.0, -v[40:41]
	v_fma_f64 v[34:35], v[22:23], 2.0, -v[42:43]
	;; [unrolled: 1-line block ×6, first 2 shown]
	v_lshlrev_b32_e32 v28, 4, v56
	ds_write_b128 v124, v[36:39] offset:16
	ds_write_b128 v124, v[16:19]
	ds_write_b128 v28, v[32:35] offset:7168
	ds_write_b128 v123, v[40:43] offset:16
	s_and_saveexec_b32 s0, vcc_lo
	s_cbranch_execz .LBB0_7
; %bb.6:
	ds_write_b128 v121, v[20:23]
	ds_write_b128 v121, v[24:27] offset:16
.LBB0_7:
	s_or_b32 exec_lo, exec_lo, s0
	s_waitcnt lgkmcnt(0)
	s_barrier
	buffer_gl0_inv
	ds_read_b128 v[32:35], v113
	ds_read_b128 v[36:39], v113 offset:3584
	ds_read_b128 v[40:43], v113 offset:8960
	;; [unrolled: 1-line block ×3, first 2 shown]
	s_and_saveexec_b32 s0, vcc_lo
	s_cbranch_execz .LBB0_9
; %bb.8:
	ds_read_b128 v[20:23], v113 offset:7168
	ds_read_b128 v[24:27], v113 offset:16128
.LBB0_9:
	s_or_b32 exec_lo, exec_lo, s0
	v_and_b32_e32 v118, 1, v116
	v_lshlrev_b32_e32 v117, 1, v44
	v_lshlrev_b32_e32 v16, 4, v118
	global_load_dwordx4 v[16:19], v16, s[2:3]
	s_waitcnt vmcnt(0) lgkmcnt(0)
	s_barrier
	buffer_gl0_inv
	v_mul_f64 v[49:50], v[30:31], v[18:19]
	v_mul_f64 v[51:52], v[28:29], v[18:19]
	v_mul_f64 v[53:54], v[26:27], v[18:19]
	v_mul_f64 v[58:59], v[24:25], v[18:19]
	v_mul_f64 v[45:46], v[42:43], v[18:19]
	v_mul_f64 v[47:48], v[40:41], v[18:19]
	v_fma_f64 v[28:29], v[28:29], v[16:17], -v[49:50]
	v_fma_f64 v[30:31], v[30:31], v[16:17], v[51:52]
	v_fma_f64 v[24:25], v[24:25], v[16:17], -v[53:54]
	v_fma_f64 v[26:27], v[26:27], v[16:17], v[58:59]
	v_fma_f64 v[40:41], v[40:41], v[16:17], -v[45:46]
	v_fma_f64 v[42:43], v[42:43], v[16:17], v[47:48]
	v_add_f64 v[45:46], v[36:37], -v[28:29]
	v_add_f64 v[47:48], v[38:39], -v[30:31]
	v_add_f64 v[28:29], v[20:21], -v[24:25]
	v_add_f64 v[30:31], v[22:23], -v[26:27]
	v_add_f64 v[40:41], v[32:33], -v[40:41]
	v_add_f64 v[42:43], v[34:35], -v[42:43]
	v_fma_f64 v[36:37], v[36:37], 2.0, -v[45:46]
	v_fma_f64 v[38:39], v[38:39], 2.0, -v[47:48]
	v_fma_f64 v[24:25], v[20:21], 2.0, -v[28:29]
	v_fma_f64 v[26:27], v[22:23], 2.0, -v[30:31]
	v_fma_f64 v[32:33], v[32:33], 2.0, -v[40:41]
	v_fma_f64 v[34:35], v[34:35], 2.0, -v[42:43]
	v_and_or_b32 v20, 0x1fc, v56, v118
	v_and_or_b32 v21, 0x3fc, v57, v118
	v_lshlrev_b32_e32 v126, 4, v20
	v_lshlrev_b32_e32 v125, 4, v21
	ds_write_b128 v126, v[40:43] offset:32
	ds_write_b128 v126, v[32:35]
	ds_write_b128 v125, v[36:39]
	ds_write_b128 v125, v[45:48] offset:32
	s_and_saveexec_b32 s0, vcc_lo
	s_cbranch_execz .LBB0_11
; %bb.10:
	v_and_or_b32 v20, 0x7fc, v117, v118
	v_lshlrev_b32_e32 v20, 4, v20
	ds_write_b128 v20, v[24:27]
	ds_write_b128 v20, v[28:31] offset:32
.LBB0_11:
	s_or_b32 exec_lo, exec_lo, s0
	s_waitcnt lgkmcnt(0)
	s_barrier
	buffer_gl0_inv
	ds_read_b128 v[36:39], v113
	ds_read_b128 v[40:43], v113 offset:3584
	ds_read_b128 v[44:47], v113 offset:8960
	ds_read_b128 v[32:35], v113 offset:12544
	s_and_saveexec_b32 s0, vcc_lo
	s_cbranch_execz .LBB0_13
; %bb.12:
	ds_read_b128 v[24:27], v113 offset:7168
	ds_read_b128 v[28:31], v113 offset:16128
.LBB0_13:
	s_or_b32 exec_lo, exec_lo, s0
	v_and_b32_e32 v119, 3, v116
	v_lshlrev_b32_e32 v20, 4, v119
	global_load_dwordx4 v[20:23], v20, s[2:3] offset:32
	s_waitcnt vmcnt(0) lgkmcnt(0)
	s_barrier
	buffer_gl0_inv
	v_mul_f64 v[52:53], v[34:35], v[22:23]
	v_mul_f64 v[54:55], v[32:33], v[22:23]
	v_mul_f64 v[58:59], v[30:31], v[22:23]
	v_mul_f64 v[60:61], v[28:29], v[22:23]
	v_mul_f64 v[48:49], v[46:47], v[22:23]
	v_mul_f64 v[50:51], v[44:45], v[22:23]
	v_fma_f64 v[32:33], v[32:33], v[20:21], -v[52:53]
	v_fma_f64 v[34:35], v[34:35], v[20:21], v[54:55]
	v_fma_f64 v[28:29], v[28:29], v[20:21], -v[58:59]
	v_fma_f64 v[30:31], v[30:31], v[20:21], v[60:61]
	v_fma_f64 v[44:45], v[44:45], v[20:21], -v[48:49]
	v_fma_f64 v[46:47], v[46:47], v[20:21], v[50:51]
	v_add_f64 v[48:49], v[40:41], -v[32:33]
	v_add_f64 v[50:51], v[42:43], -v[34:35]
	v_add_f64 v[32:33], v[24:25], -v[28:29]
	v_add_f64 v[34:35], v[26:27], -v[30:31]
	v_add_f64 v[44:45], v[36:37], -v[44:45]
	v_add_f64 v[46:47], v[38:39], -v[46:47]
	v_fma_f64 v[40:41], v[40:41], 2.0, -v[48:49]
	v_fma_f64 v[42:43], v[42:43], 2.0, -v[50:51]
	v_fma_f64 v[28:29], v[24:25], 2.0, -v[32:33]
	v_fma_f64 v[30:31], v[26:27], 2.0, -v[34:35]
	v_fma_f64 v[36:37], v[36:37], 2.0, -v[44:45]
	v_fma_f64 v[38:39], v[38:39], 2.0, -v[46:47]
	v_and_or_b32 v24, 0x1f8, v56, v119
	v_and_or_b32 v25, 0x3f8, v57, v119
	v_lshlrev_b32_e32 v128, 4, v24
	v_lshlrev_b32_e32 v127, 4, v25
	ds_write_b128 v128, v[44:47] offset:64
	ds_write_b128 v128, v[36:39]
	ds_write_b128 v127, v[40:43]
	ds_write_b128 v127, v[48:51] offset:64
	s_and_saveexec_b32 s0, vcc_lo
	s_cbranch_execz .LBB0_15
; %bb.14:
	v_and_or_b32 v24, 0x7f8, v117, v119
	v_lshlrev_b32_e32 v24, 4, v24
	ds_write_b128 v24, v[28:31]
	ds_write_b128 v24, v[32:35] offset:64
.LBB0_15:
	s_or_b32 exec_lo, exec_lo, s0
	s_waitcnt lgkmcnt(0)
	s_barrier
	buffer_gl0_inv
	ds_read_b128 v[40:43], v113
	ds_read_b128 v[44:47], v113 offset:3584
	ds_read_b128 v[48:51], v113 offset:8960
	ds_read_b128 v[36:39], v113 offset:12544
	s_and_saveexec_b32 s0, vcc_lo
	s_cbranch_execz .LBB0_17
; %bb.16:
	ds_read_b128 v[28:31], v113 offset:7168
	ds_read_b128 v[32:35], v113 offset:16128
.LBB0_17:
	s_or_b32 exec_lo, exec_lo, s0
	v_and_b32_e32 v120, 7, v116
	v_lshlrev_b32_e32 v24, 4, v120
	global_load_dwordx4 v[24:27], v24, s[2:3] offset:96
	;; [unrolled: 61-line block ×3, first 2 shown]
	s_waitcnt vmcnt(0) lgkmcnt(0)
	s_barrier
	buffer_gl0_inv
	v_mul_f64 v[58:59], v[54:55], v[30:31]
	v_mul_f64 v[60:61], v[52:53], v[30:31]
	;; [unrolled: 1-line block ×4, first 2 shown]
	v_fma_f64 v[52:53], v[52:53], v[28:29], -v[58:59]
	v_fma_f64 v[54:55], v[54:55], v[28:29], v[60:61]
	v_fma_f64 v[58:59], v[48:49], v[28:29], -v[62:63]
	v_fma_f64 v[60:61], v[50:51], v[28:29], v[64:65]
	v_mul_f64 v[62:63], v[38:39], v[30:31]
	v_mul_f64 v[64:65], v[36:37], v[30:31]
	v_add_f64 v[48:49], v[44:45], -v[52:53]
	v_add_f64 v[50:51], v[46:47], -v[54:55]
	v_add_f64 v[52:53], v[40:41], -v[58:59]
	v_add_f64 v[54:55], v[42:43], -v[60:61]
	v_fma_f64 v[58:59], v[36:37], v[28:29], -v[62:63]
	v_fma_f64 v[60:61], v[38:39], v[28:29], v[64:65]
	v_fma_f64 v[36:37], v[44:45], 2.0, -v[48:49]
	v_fma_f64 v[38:39], v[46:47], 2.0, -v[50:51]
	;; [unrolled: 1-line block ×4, first 2 shown]
	v_add_f64 v[72:73], v[32:33], -v[58:59]
	v_add_f64 v[74:75], v[34:35], -v[60:61]
	v_and_or_b32 v44, 0x1e0, v56, v122
	v_and_or_b32 v45, 0x3e0, v57, v122
	v_lshlrev_b32_e32 v132, 4, v44
	v_lshlrev_b32_e32 v131, 4, v45
	ds_write_b128 v132, v[48:51] offset:256
	ds_write_b128 v132, v[36:39]
	ds_write_b128 v131, v[40:43]
	ds_write_b128 v131, v[52:55] offset:256
	s_and_saveexec_b32 s0, vcc_lo
	s_cbranch_execz .LBB0_23
; %bb.22:
	v_fma_f64 v[34:35], v[34:35], 2.0, -v[74:75]
	v_fma_f64 v[32:33], v[32:33], 2.0, -v[72:73]
	v_and_or_b32 v36, 0x7e0, v117, v122
	v_lshlrev_b32_e32 v36, 4, v36
	ds_write_b128 v36, v[32:35]
	ds_write_b128 v36, v[72:75] offset:256
.LBB0_23:
	s_or_b32 exec_lo, exec_lo, s0
	v_and_b32_e32 v105, 31, v116
	s_waitcnt lgkmcnt(0)
	s_barrier
	buffer_gl0_inv
	s_mov_b32 s0, 0x134454ff
	v_lshlrev_b32_e32 v32, 6, v105
	s_mov_b32 s1, 0x3fee6f0e
	s_mov_b32 s5, 0xbfee6f0e
	;; [unrolled: 1-line block ×3, first 2 shown]
	s_clause 0x3
	global_load_dwordx4 v[44:47], v32, s[2:3] offset:480
	global_load_dwordx4 v[40:43], v32, s[2:3] offset:496
	;; [unrolled: 1-line block ×4, first 2 shown]
	ds_read_b128 v[48:51], v113 offset:3584
	ds_read_b128 v[52:55], v113 offset:7168
	;; [unrolled: 1-line block ×4, first 2 shown]
	s_waitcnt vmcnt(3) lgkmcnt(3)
	v_mul_f64 v[64:65], v[50:51], v[46:47]
	s_waitcnt vmcnt(2) lgkmcnt(2)
	v_mul_f64 v[66:67], v[54:55], v[42:43]
	s_waitcnt vmcnt(1) lgkmcnt(1)
	v_mul_f64 v[68:69], v[58:59], v[38:39]
	v_mul_f64 v[70:71], v[48:49], v[46:47]
	s_waitcnt vmcnt(0) lgkmcnt(0)
	v_mul_f64 v[76:77], v[62:63], v[34:35]
	v_mul_f64 v[78:79], v[52:53], v[42:43]
	;; [unrolled: 1-line block ×4, first 2 shown]
	v_fma_f64 v[64:65], v[48:49], v[44:45], -v[64:65]
	v_fma_f64 v[52:53], v[52:53], v[40:41], -v[66:67]
	;; [unrolled: 1-line block ×3, first 2 shown]
	v_fma_f64 v[66:67], v[50:51], v[44:45], v[70:71]
	v_fma_f64 v[60:61], v[60:61], v[32:33], -v[76:77]
	v_fma_f64 v[54:55], v[54:55], v[40:41], v[78:79]
	v_fma_f64 v[58:59], v[58:59], v[36:37], v[80:81]
	;; [unrolled: 1-line block ×3, first 2 shown]
	ds_read_b128 v[48:51], v113
	s_waitcnt lgkmcnt(0)
	s_barrier
	buffer_gl0_inv
	v_add_f64 v[68:69], v[52:53], v[56:57]
	v_add_f64 v[70:71], v[64:65], v[60:61]
	v_add_f64 v[88:89], v[64:65], -v[60:61]
	v_add_f64 v[76:77], v[54:55], v[58:59]
	v_add_f64 v[78:79], v[66:67], v[62:63]
	;; [unrolled: 1-line block ×3, first 2 shown]
	v_add_f64 v[82:83], v[66:67], -v[62:63]
	v_add_f64 v[84:85], v[54:55], -v[58:59]
	v_add_f64 v[86:87], v[50:51], v[66:67]
	v_add_f64 v[90:91], v[60:61], -v[56:57]
	v_add_f64 v[92:93], v[56:57], -v[60:61]
	v_add_f64 v[94:95], v[66:67], -v[54:55]
	v_add_f64 v[96:97], v[62:63], -v[58:59]
	v_add_f64 v[66:67], v[54:55], -v[66:67]
	v_add_f64 v[98:99], v[58:59], -v[62:63]
	v_fma_f64 v[68:69], v[68:69], -0.5, v[48:49]
	v_fma_f64 v[48:49], v[70:71], -0.5, v[48:49]
	v_add_f64 v[70:71], v[52:53], -v[56:57]
	v_fma_f64 v[76:77], v[76:77], -0.5, v[50:51]
	v_fma_f64 v[50:51], v[78:79], -0.5, v[50:51]
	v_add_f64 v[78:79], v[64:65], -v[52:53]
	v_add_f64 v[64:65], v[52:53], -v[64:65]
	v_add_f64 v[52:53], v[80:81], v[52:53]
	v_add_f64 v[54:55], v[86:87], v[54:55]
	;; [unrolled: 1-line block ×3, first 2 shown]
	v_lshrrev_b32_e32 v96, 5, v116
	v_add_f64 v[66:67], v[66:67], v[98:99]
	v_fma_f64 v[80:81], v[82:83], s[0:1], v[68:69]
	v_fma_f64 v[68:69], v[82:83], s[4:5], v[68:69]
	;; [unrolled: 1-line block ×8, first 2 shown]
	s_mov_b32 s0, 0x4755a5e
	s_mov_b32 s1, 0x3fe2cf23
	;; [unrolled: 1-line block ×4, first 2 shown]
	v_add_f64 v[90:91], v[78:79], v[90:91]
	v_add_f64 v[64:65], v[64:65], v[92:93]
	v_add_f64 v[52:53], v[52:53], v[56:57]
	v_add_f64 v[54:55], v[54:55], v[58:59]
	v_fma_f64 v[56:57], v[84:85], s[0:1], v[80:81]
	v_fma_f64 v[58:59], v[84:85], s[4:5], v[68:69]
	;; [unrolled: 1-line block ×8, first 2 shown]
	s_mov_b32 s0, 0x372fe950
	s_mov_b32 s1, 0x3fd3c6ef
	v_add_f64 v[76:77], v[52:53], v[60:61]
	v_add_f64 v[78:79], v[54:55], v[62:63]
	v_fma_f64 v[80:81], v[90:91], s[0:1], v[56:57]
	v_fma_f64 v[92:93], v[90:91], s[0:1], v[58:59]
	;; [unrolled: 1-line block ×8, first 2 shown]
	v_mul_u32_u24_e32 v48, 0xa0, v96
	v_cmp_gt_u16_e64 s0, 0xa0, v116
                                        ; implicit-def: $vgpr96_vgpr97
	v_or_b32_e32 v48, v48, v105
	v_lshlrev_b32_e32 v133, 4, v48
	ds_write_b128 v133, v[76:79]
	ds_write_b128 v133, v[80:83] offset:512
	ds_write_b128 v133, v[84:87] offset:1024
	;; [unrolled: 1-line block ×4, first 2 shown]
	s_waitcnt lgkmcnt(0)
	s_barrier
	buffer_gl0_inv
	s_and_saveexec_b32 s1, s0
	s_cbranch_execz .LBB0_25
; %bb.24:
	ds_read_b128 v[76:79], v113
	ds_read_b128 v[80:83], v113 offset:2560
	ds_read_b128 v[84:87], v113 offset:5120
	;; [unrolled: 1-line block ×6, first 2 shown]
.LBB0_25:
	s_or_b32 exec_lo, exec_lo, s1
	v_add_nc_u32_e32 v48, 0xffffff60, v116
	s_mov_b32 s4, 0xe976ee23
	s_mov_b32 s5, 0xbfe11646
	;; [unrolled: 1-line block ×4, first 2 shown]
	v_cndmask_b32_e64 v48, v48, v116, s0
	s_mov_b32 s15, 0x3fe77f67
	s_mov_b32 s14, 0x5476071b
	;; [unrolled: 1-line block ×4, first 2 shown]
	v_mul_i32_i24_e32 v49, 0x60, v48
	v_mul_hi_i32_i24_e32 v48, 0x60, v48
	v_add_co_u32 v49, s1, s2, v49
	v_add_co_ci_u32_e64 v48, s1, s3, v48, s1
	v_add_co_u32 v58, s2, 0x800, v49
	v_add_co_u32 v56, s1, 0x9e0, v49
	;; [unrolled: 1-line block ×3, first 2 shown]
	v_add_co_ci_u32_e64 v59, s2, 0, v48, s2
	v_add_co_ci_u32_e64 v57, s1, 0, v48, s1
	;; [unrolled: 1-line block ×3, first 2 shown]
	s_clause 0x5
	global_load_dwordx4 v[52:55], v[58:59], off offset:480
	global_load_dwordx4 v[48:51], v[56:57], off offset:16
	;; [unrolled: 1-line block ×6, first 2 shown]
	s_mov_b32 s2, 0x36b3c0b5
	s_mov_b32 s3, 0x3fac98ee
	s_waitcnt vmcnt(5) lgkmcnt(5)
	v_mul_f64 v[101:102], v[82:83], v[54:55]
	v_mul_f64 v[103:104], v[80:81], v[54:55]
	s_waitcnt vmcnt(4) lgkmcnt(4)
	v_mul_f64 v[105:106], v[86:87], v[50:51]
	v_mul_f64 v[107:108], v[84:85], v[50:51]
	;; [unrolled: 3-line block ×3, first 2 shown]
	s_waitcnt vmcnt(2)
	v_mul_f64 v[134:135], v[74:75], v[66:67]
	v_mul_f64 v[136:137], v[72:73], v[66:67]
	s_waitcnt vmcnt(1)
	v_mul_f64 v[138:139], v[90:91], v[62:63]
	v_mul_f64 v[140:141], v[88:89], v[62:63]
	;; [unrolled: 3-line block ×3, first 2 shown]
	v_fma_f64 v[80:81], v[80:81], v[52:53], -v[101:102]
	v_fma_f64 v[82:83], v[82:83], v[52:53], v[103:104]
	v_fma_f64 v[84:85], v[84:85], v[48:49], -v[105:106]
	v_fma_f64 v[86:87], v[86:87], v[48:49], v[107:108]
	;; [unrolled: 2-line block ×6, first 2 shown]
	v_add_f64 v[101:102], v[80:81], v[96:97]
	v_add_f64 v[103:104], v[82:83], v[98:99]
	;; [unrolled: 1-line block ×4, first 2 shown]
	v_add_f64 v[72:73], v[84:85], -v[72:73]
	v_add_f64 v[74:75], v[86:87], -v[74:75]
	v_add_f64 v[84:85], v[88:89], v[92:93]
	v_add_f64 v[86:87], v[90:91], v[94:95]
	v_add_f64 v[88:89], v[92:93], -v[88:89]
	v_add_f64 v[90:91], v[94:95], -v[90:91]
	;; [unrolled: 1-line block ×4, first 2 shown]
	v_add_f64 v[92:93], v[105:106], v[101:102]
	v_add_f64 v[94:95], v[107:108], v[103:104]
	v_add_f64 v[96:97], v[84:85], -v[105:106]
	v_add_f64 v[98:99], v[86:87], -v[107:108]
	;; [unrolled: 1-line block ×10, first 2 shown]
	v_add_f64 v[72:73], v[88:89], v[72:73]
	v_add_f64 v[74:75], v[90:91], v[74:75]
	v_add_f64 v[88:89], v[80:81], -v[88:89]
	v_add_f64 v[90:91], v[82:83], -v[90:91]
	v_add_f64 v[92:93], v[84:85], v[92:93]
	v_add_f64 v[94:95], v[86:87], v[94:95]
	v_mul_f64 v[105:106], v[96:97], s[2:3]
	v_mul_f64 v[107:108], v[98:99], s[2:3]
	;; [unrolled: 1-line block ×4, first 2 shown]
	s_mov_b32 s4, 0x429ad128
	s_mov_b32 s5, 0x3febfeb5
	v_mul_f64 v[142:143], v[134:135], s[4:5]
	v_mul_f64 v[144:145], v[136:137], s[4:5]
	v_add_f64 v[72:73], v[72:73], v[80:81]
	v_add_f64 v[74:75], v[74:75], v[82:83]
	;; [unrolled: 1-line block ×4, first 2 shown]
	v_mul_f64 v[76:77], v[138:139], s[12:13]
	v_mul_f64 v[78:79], v[140:141], s[12:13]
	s_mov_b32 s12, 0xaaaaaaaa
	s_mov_b32 s13, 0xbff2aaaa
	v_fma_f64 v[80:81], v[101:102], s[14:15], -v[105:106]
	v_fma_f64 v[82:83], v[103:104], s[14:15], -v[107:108]
	s_mov_b32 s15, 0xbfe77f67
	v_fma_f64 v[105:106], v[88:89], s[16:17], v[109:110]
	v_fma_f64 v[107:108], v[90:91], s[16:17], v[111:112]
	s_mov_b32 s17, 0xbfd5d0dc
	v_fma_f64 v[109:110], v[134:135], s[4:5], -v[109:110]
	v_fma_f64 v[111:112], v[136:137], s[4:5], -v[111:112]
	;; [unrolled: 1-line block ×4, first 2 shown]
	v_fma_f64 v[138:139], v[92:93], s[12:13], v[84:85]
	v_fma_f64 v[140:141], v[94:95], s[12:13], v[86:87]
	v_fma_f64 v[101:102], v[101:102], s[14:15], -v[76:77]
	v_fma_f64 v[142:143], v[103:104], s[14:15], -v[78:79]
	v_fma_f64 v[76:77], v[96:97], s[2:3], v[76:77]
	v_fma_f64 v[78:79], v[98:99], s[2:3], v[78:79]
	s_mov_b32 s2, 0x37c3f68c
	s_mov_b32 s3, 0x3fdc38aa
	v_fma_f64 v[92:93], v[72:73], s[2:3], v[105:106]
	v_fma_f64 v[88:89], v[74:75], s[2:3], v[107:108]
	v_fma_f64 v[107:108], v[72:73], s[2:3], v[109:110]
	v_fma_f64 v[90:91], v[74:75], s[2:3], v[111:112]
	v_fma_f64 v[103:104], v[72:73], s[2:3], v[134:135]
	v_fma_f64 v[96:97], v[74:75], s[2:3], v[136:137]
	v_add_f64 v[94:95], v[80:81], v[138:139]
	v_add_f64 v[111:112], v[82:83], v[140:141]
	;; [unrolled: 1-line block ×7, first 2 shown]
	v_add_f64 v[78:79], v[111:112], -v[107:108]
	v_add_f64 v[80:81], v[98:99], -v[96:97]
	v_add_f64 v[82:83], v[103:104], v[109:110]
	v_add_f64 v[72:73], v[101:102], -v[88:89]
	v_add_f64 v[74:75], v[92:93], v[105:106]
	s_and_saveexec_b32 s1, s0
	s_cbranch_execz .LBB0_27
; %bb.26:
	v_add_f64 v[107:108], v[107:108], v[111:112]
	v_add_f64 v[103:104], v[109:110], -v[103:104]
	v_add_f64 v[111:112], v[105:106], -v[92:93]
	v_add_f64 v[109:110], v[88:89], v[101:102]
	v_add_f64 v[101:102], v[96:97], v[98:99]
	v_add_f64 v[105:106], v[94:95], -v[90:91]
	ds_write_b128 v113, v[84:87]
	ds_write_b128 v113, v[76:79] offset:10240
	ds_write_b128 v113, v[80:83] offset:12800
	;; [unrolled: 1-line block ×6, first 2 shown]
.LBB0_27:
	s_or_b32 exec_lo, exec_lo, s1
	v_add_co_u32 v84, s1, 0x4000, v114
	v_add_co_ci_u32_e64 v85, s1, 0, v115, s1
	v_add_co_u32 v88, s1, 0x6800, v114
	v_add_co_ci_u32_e64 v89, s1, 0, v115, s1
	;; [unrolled: 2-line block ×3, first 2 shown]
	v_add_co_u32 v96, s1, 0x7000, v114
	s_waitcnt lgkmcnt(0)
	s_barrier
	buffer_gl0_inv
	global_load_dwordx4 v[84:87], v[84:85], off offset:1536
	v_add_co_ci_u32_e64 v97, s1, 0, v115, s1
	s_clause 0x2
	global_load_dwordx4 v[88:91], v[88:89], off offset:256
	global_load_dwordx4 v[92:95], v[92:93], off offset:1024
	;; [unrolled: 1-line block ×3, first 2 shown]
	ds_read_b128 v[101:104], v113
	ds_read_b128 v[105:108], v113 offset:8960
	ds_read_b128 v[109:112], v113 offset:3584
	;; [unrolled: 1-line block ×3, first 2 shown]
	s_waitcnt vmcnt(3) lgkmcnt(3)
	v_mul_f64 v[138:139], v[103:104], v[86:87]
	v_mul_f64 v[86:87], v[101:102], v[86:87]
	s_waitcnt vmcnt(2) lgkmcnt(2)
	v_mul_f64 v[140:141], v[107:108], v[90:91]
	v_mul_f64 v[90:91], v[105:106], v[90:91]
	;; [unrolled: 3-line block ×4, first 2 shown]
	v_fma_f64 v[101:102], v[101:102], v[84:85], -v[138:139]
	v_fma_f64 v[103:104], v[103:104], v[84:85], v[86:87]
	v_fma_f64 v[84:85], v[105:106], v[88:89], -v[140:141]
	v_fma_f64 v[86:87], v[107:108], v[88:89], v[90:91]
	;; [unrolled: 2-line block ×4, first 2 shown]
	ds_write_b128 v113, v[101:104]
	ds_write_b128 v113, v[84:87] offset:8960
	ds_write_b128 v113, v[88:91] offset:3584
	;; [unrolled: 1-line block ×3, first 2 shown]
	s_and_saveexec_b32 s2, vcc_lo
	s_cbranch_execz .LBB0_29
; %bb.28:
	v_add_co_u32 v86, s1, 0x4600, v114
	v_add_co_ci_u32_e64 v87, s1, 0, v115, s1
	v_add_co_u32 v84, s1, 0x1800, v86
	v_add_co_ci_u32_e64 v85, s1, 0, v87, s1
	;; [unrolled: 2-line block ×3, first 2 shown]
	s_clause 0x1
	global_load_dwordx4 v[84:87], v[84:85], off offset:1024
	global_load_dwordx4 v[88:91], v[88:89], off offset:1792
	ds_read_b128 v[92:95], v113 offset:7168
	ds_read_b128 v[96:99], v113 offset:16128
	s_waitcnt vmcnt(1) lgkmcnt(1)
	v_mul_f64 v[101:102], v[94:95], v[86:87]
	v_mul_f64 v[86:87], v[92:93], v[86:87]
	s_waitcnt vmcnt(0) lgkmcnt(0)
	v_mul_f64 v[103:104], v[98:99], v[90:91]
	v_mul_f64 v[105:106], v[96:97], v[90:91]
	v_fma_f64 v[90:91], v[92:93], v[84:85], -v[101:102]
	v_fma_f64 v[92:93], v[94:95], v[84:85], v[86:87]
	v_fma_f64 v[84:85], v[96:97], v[88:89], -v[103:104]
	v_fma_f64 v[86:87], v[98:99], v[88:89], v[105:106]
	ds_write_b128 v113, v[90:93] offset:7168
	ds_write_b128 v113, v[84:87] offset:16128
.LBB0_29:
	s_or_b32 exec_lo, exec_lo, s2
	s_waitcnt lgkmcnt(0)
	s_barrier
	buffer_gl0_inv
	ds_read_b128 v[84:87], v113
	ds_read_b128 v[88:91], v113 offset:3584
	ds_read_b128 v[96:99], v113 offset:8960
	;; [unrolled: 1-line block ×3, first 2 shown]
	s_and_saveexec_b32 s1, vcc_lo
	s_cbranch_execz .LBB0_31
; %bb.30:
	ds_read_b128 v[76:79], v113 offset:7168
	ds_read_b128 v[80:83], v113 offset:16128
.LBB0_31:
	s_or_b32 exec_lo, exec_lo, s1
	s_waitcnt lgkmcnt(0)
	v_add_f64 v[80:81], v[76:77], -v[80:81]
	v_add_f64 v[82:83], v[78:79], -v[82:83]
	;; [unrolled: 1-line block ×6, first 2 shown]
	s_barrier
	buffer_gl0_inv
	v_fma_f64 v[76:77], v[76:77], 2.0, -v[80:81]
	v_fma_f64 v[78:79], v[78:79], 2.0, -v[82:83]
	v_fma_f64 v[84:85], v[84:85], 2.0, -v[96:97]
	v_fma_f64 v[86:87], v[86:87], 2.0, -v[98:99]
	v_fma_f64 v[88:89], v[88:89], 2.0, -v[92:93]
	v_fma_f64 v[90:91], v[90:91], 2.0, -v[94:95]
	ds_write_b128 v124, v[96:99] offset:16
	ds_write_b128 v124, v[84:87]
	ds_write_b128 v123, v[88:91]
	ds_write_b128 v123, v[92:95] offset:16
	s_and_saveexec_b32 s1, vcc_lo
	s_cbranch_execz .LBB0_33
; %bb.32:
	ds_write_b128 v121, v[76:79]
	ds_write_b128 v121, v[80:83] offset:16
.LBB0_33:
	s_or_b32 exec_lo, exec_lo, s1
	s_waitcnt lgkmcnt(0)
	s_barrier
	buffer_gl0_inv
	ds_read_b128 v[84:87], v113
	ds_read_b128 v[88:91], v113 offset:3584
	ds_read_b128 v[96:99], v113 offset:8960
	ds_read_b128 v[92:95], v113 offset:12544
	s_and_saveexec_b32 s1, vcc_lo
	s_cbranch_execz .LBB0_35
; %bb.34:
	ds_read_b128 v[76:79], v113 offset:7168
	ds_read_b128 v[80:83], v113 offset:16128
.LBB0_35:
	s_or_b32 exec_lo, exec_lo, s1
	s_waitcnt lgkmcnt(1)
	v_mul_f64 v[101:102], v[18:19], v[98:99]
	v_mul_f64 v[103:104], v[18:19], v[96:97]
	s_waitcnt lgkmcnt(0)
	v_mul_f64 v[105:106], v[18:19], v[94:95]
	v_mul_f64 v[107:108], v[18:19], v[92:93]
	v_mul_f64 v[109:110], v[18:19], v[82:83]
	v_mul_f64 v[18:19], v[18:19], v[80:81]
	s_barrier
	buffer_gl0_inv
	v_fma_f64 v[96:97], v[16:17], v[96:97], v[101:102]
	v_fma_f64 v[98:99], v[16:17], v[98:99], -v[103:104]
	v_fma_f64 v[101:102], v[16:17], v[92:93], v[105:106]
	v_fma_f64 v[103:104], v[16:17], v[94:95], -v[107:108]
	v_fma_f64 v[80:81], v[16:17], v[80:81], v[109:110]
	v_fma_f64 v[16:17], v[16:17], v[82:83], -v[18:19]
	v_add_f64 v[92:93], v[84:85], -v[96:97]
	v_add_f64 v[94:95], v[86:87], -v[98:99]
	v_add_f64 v[96:97], v[88:89], -v[101:102]
	v_add_f64 v[98:99], v[90:91], -v[103:104]
	v_add_f64 v[80:81], v[76:77], -v[80:81]
	v_add_f64 v[82:83], v[78:79], -v[16:17]
	v_fma_f64 v[84:85], v[84:85], 2.0, -v[92:93]
	v_fma_f64 v[86:87], v[86:87], 2.0, -v[94:95]
	v_fma_f64 v[88:89], v[88:89], 2.0, -v[96:97]
	v_fma_f64 v[90:91], v[90:91], 2.0, -v[98:99]
	v_fma_f64 v[16:17], v[76:77], 2.0, -v[80:81]
	v_fma_f64 v[18:19], v[78:79], 2.0, -v[82:83]
	ds_write_b128 v126, v[92:95] offset:32
	ds_write_b128 v126, v[84:87]
	ds_write_b128 v125, v[88:91]
	ds_write_b128 v125, v[96:99] offset:32
	s_and_saveexec_b32 s1, vcc_lo
	s_cbranch_execz .LBB0_37
; %bb.36:
	v_and_or_b32 v76, 0x7fc, v117, v118
	v_lshlrev_b32_e32 v76, 4, v76
	ds_write_b128 v76, v[16:19]
	ds_write_b128 v76, v[80:83] offset:32
.LBB0_37:
	s_or_b32 exec_lo, exec_lo, s1
	s_waitcnt lgkmcnt(0)
	s_barrier
	buffer_gl0_inv
	ds_read_b128 v[76:79], v113
	ds_read_b128 v[84:87], v113 offset:3584
	ds_read_b128 v[92:95], v113 offset:8960
	ds_read_b128 v[88:91], v113 offset:12544
	s_and_saveexec_b32 s1, vcc_lo
	s_cbranch_execz .LBB0_39
; %bb.38:
	ds_read_b128 v[16:19], v113 offset:7168
	ds_read_b128 v[80:83], v113 offset:16128
.LBB0_39:
	s_or_b32 exec_lo, exec_lo, s1
	s_waitcnt lgkmcnt(1)
	v_mul_f64 v[96:97], v[22:23], v[94:95]
	v_mul_f64 v[98:99], v[22:23], v[92:93]
	s_waitcnt lgkmcnt(0)
	v_mul_f64 v[101:102], v[22:23], v[90:91]
	v_mul_f64 v[103:104], v[22:23], v[88:89]
	v_mul_f64 v[105:106], v[22:23], v[82:83]
	v_mul_f64 v[22:23], v[22:23], v[80:81]
	s_barrier
	buffer_gl0_inv
	v_fma_f64 v[92:93], v[20:21], v[92:93], v[96:97]
	v_fma_f64 v[94:95], v[20:21], v[94:95], -v[98:99]
	v_fma_f64 v[88:89], v[20:21], v[88:89], v[101:102]
	v_fma_f64 v[90:91], v[20:21], v[90:91], -v[103:104]
	v_fma_f64 v[96:97], v[20:21], v[80:81], v[105:106]
	v_fma_f64 v[22:23], v[20:21], v[82:83], -v[22:23]
	v_add_f64 v[80:81], v[76:77], -v[92:93]
	v_add_f64 v[82:83], v[78:79], -v[94:95]
	v_add_f64 v[88:89], v[84:85], -v[88:89]
	v_add_f64 v[90:91], v[86:87], -v[90:91]
	v_add_f64 v[20:21], v[16:17], -v[96:97]
	v_add_f64 v[22:23], v[18:19], -v[22:23]
	v_fma_f64 v[76:77], v[76:77], 2.0, -v[80:81]
	v_fma_f64 v[78:79], v[78:79], 2.0, -v[82:83]
	v_fma_f64 v[84:85], v[84:85], 2.0, -v[88:89]
	v_fma_f64 v[86:87], v[86:87], 2.0, -v[90:91]
	v_fma_f64 v[16:17], v[16:17], 2.0, -v[20:21]
	v_fma_f64 v[18:19], v[18:19], 2.0, -v[22:23]
	ds_write_b128 v128, v[80:83] offset:64
	ds_write_b128 v128, v[76:79]
	ds_write_b128 v127, v[84:87]
	ds_write_b128 v127, v[88:91] offset:64
	s_and_saveexec_b32 s1, vcc_lo
	s_cbranch_execz .LBB0_41
; %bb.40:
	v_and_or_b32 v76, 0x7f8, v117, v119
	v_lshlrev_b32_e32 v76, 4, v76
	ds_write_b128 v76, v[16:19]
	ds_write_b128 v76, v[20:23] offset:64
.LBB0_41:
	;; [unrolled: 55-line block ×3, first 2 shown]
	s_or_b32 exec_lo, exec_lo, s1
	s_waitcnt lgkmcnt(0)
	s_barrier
	buffer_gl0_inv
	ds_read_b128 v[76:79], v113
	ds_read_b128 v[16:19], v113 offset:3584
	ds_read_b128 v[84:87], v113 offset:8960
	;; [unrolled: 1-line block ×3, first 2 shown]
	s_and_saveexec_b32 s1, vcc_lo
	s_cbranch_execz .LBB0_47
; %bb.46:
	ds_read_b128 v[20:23], v113 offset:7168
	ds_read_b128 v[24:27], v113 offset:16128
.LBB0_47:
	s_or_b32 exec_lo, exec_lo, s1
	s_waitcnt lgkmcnt(1)
	v_mul_f64 v[88:89], v[30:31], v[86:87]
	v_mul_f64 v[90:91], v[30:31], v[84:85]
	s_waitcnt lgkmcnt(0)
	v_mul_f64 v[92:93], v[30:31], v[82:83]
	v_mul_f64 v[94:95], v[30:31], v[80:81]
	s_barrier
	buffer_gl0_inv
	v_fma_f64 v[84:85], v[28:29], v[84:85], v[88:89]
	v_fma_f64 v[86:87], v[28:29], v[86:87], -v[90:91]
	v_fma_f64 v[88:89], v[28:29], v[80:81], v[92:93]
	v_fma_f64 v[90:91], v[28:29], v[82:83], -v[94:95]
	v_mul_f64 v[92:93], v[30:31], v[26:27]
	v_mul_f64 v[30:31], v[30:31], v[24:25]
	v_add_f64 v[80:81], v[76:77], -v[84:85]
	v_add_f64 v[82:83], v[78:79], -v[86:87]
	;; [unrolled: 1-line block ×4, first 2 shown]
	v_fma_f64 v[88:89], v[28:29], v[24:25], v[92:93]
	v_fma_f64 v[90:91], v[28:29], v[26:27], -v[30:31]
	v_fma_f64 v[24:25], v[76:77], 2.0, -v[80:81]
	v_fma_f64 v[26:27], v[78:79], 2.0, -v[82:83]
	;; [unrolled: 1-line block ×4, first 2 shown]
	v_add_f64 v[16:17], v[20:21], -v[88:89]
	v_add_f64 v[18:19], v[22:23], -v[90:91]
	ds_write_b128 v132, v[80:83] offset:256
	ds_write_b128 v132, v[24:27]
	ds_write_b128 v131, v[28:31]
	ds_write_b128 v131, v[84:87] offset:256
	s_and_saveexec_b32 s1, vcc_lo
	s_cbranch_execz .LBB0_49
; %bb.48:
	v_fma_f64 v[22:23], v[22:23], 2.0, -v[18:19]
	v_fma_f64 v[20:21], v[20:21], 2.0, -v[16:17]
	v_and_or_b32 v24, 0x7e0, v117, v122
	v_lshlrev_b32_e32 v24, 4, v24
	ds_write_b128 v24, v[20:23]
	ds_write_b128 v24, v[16:19] offset:256
.LBB0_49:
	s_or_b32 exec_lo, exec_lo, s1
	s_waitcnt lgkmcnt(0)
	s_barrier
	buffer_gl0_inv
	ds_read_b128 v[20:23], v113 offset:3584
	ds_read_b128 v[24:27], v113 offset:7168
	;; [unrolled: 1-line block ×4, first 2 shown]
	s_mov_b32 s2, 0x134454ff
	s_mov_b32 s3, 0xbfee6f0e
	;; [unrolled: 1-line block ×4, first 2 shown]
	s_waitcnt lgkmcnt(3)
	v_mul_f64 v[80:81], v[46:47], v[22:23]
	s_waitcnt lgkmcnt(2)
	v_mul_f64 v[82:83], v[42:43], v[26:27]
	s_waitcnt lgkmcnt(1)
	v_mul_f64 v[84:85], v[38:39], v[30:31]
	v_mul_f64 v[46:47], v[46:47], v[20:21]
	s_waitcnt lgkmcnt(0)
	v_mul_f64 v[86:87], v[34:35], v[78:79]
	v_mul_f64 v[42:43], v[42:43], v[24:25]
	;; [unrolled: 1-line block ×4, first 2 shown]
	v_fma_f64 v[80:81], v[44:45], v[20:21], v[80:81]
	v_fma_f64 v[24:25], v[40:41], v[24:25], v[82:83]
	;; [unrolled: 1-line block ×3, first 2 shown]
	v_fma_f64 v[44:45], v[44:45], v[22:23], -v[46:47]
	v_fma_f64 v[46:47], v[32:33], v[76:77], v[86:87]
	v_fma_f64 v[26:27], v[40:41], v[26:27], -v[42:43]
	v_fma_f64 v[30:31], v[36:37], v[30:31], -v[38:39]
	;; [unrolled: 1-line block ×3, first 2 shown]
	ds_read_b128 v[20:23], v113
	s_waitcnt lgkmcnt(0)
	s_barrier
	buffer_gl0_inv
	v_add_f64 v[34:35], v[24:25], v[28:29]
	v_add_f64 v[36:37], v[80:81], v[46:47]
	v_add_f64 v[84:85], v[80:81], -v[46:47]
	v_add_f64 v[38:39], v[26:27], v[30:31]
	v_add_f64 v[40:41], v[44:45], v[32:33]
	;; [unrolled: 1-line block ×3, first 2 shown]
	v_add_f64 v[76:77], v[44:45], -v[32:33]
	v_add_f64 v[78:79], v[26:27], -v[30:31]
	v_add_f64 v[82:83], v[22:23], v[44:45]
	v_add_f64 v[86:87], v[46:47], -v[28:29]
	v_add_f64 v[88:89], v[28:29], -v[46:47]
	;; [unrolled: 1-line block ×6, first 2 shown]
	v_fma_f64 v[34:35], v[34:35], -0.5, v[20:21]
	v_fma_f64 v[20:21], v[36:37], -0.5, v[20:21]
	v_add_f64 v[36:37], v[24:25], -v[28:29]
	v_fma_f64 v[38:39], v[38:39], -0.5, v[22:23]
	v_fma_f64 v[22:23], v[40:41], -0.5, v[22:23]
	v_add_f64 v[40:41], v[80:81], -v[24:25]
	v_add_f64 v[80:81], v[24:25], -v[80:81]
	v_add_f64 v[24:25], v[42:43], v[24:25]
	v_add_f64 v[26:27], v[82:83], v[26:27]
	;; [unrolled: 1-line block ×3, first 2 shown]
	v_fma_f64 v[42:43], v[76:77], s[2:3], v[34:35]
	v_fma_f64 v[34:35], v[76:77], s[4:5], v[34:35]
	;; [unrolled: 1-line block ×8, first 2 shown]
	s_mov_b32 s2, 0x4755a5e
	s_mov_b32 s3, 0xbfe2cf23
	;; [unrolled: 1-line block ×4, first 2 shown]
	v_add_f64 v[40:41], v[40:41], v[86:87]
	v_add_f64 v[80:81], v[80:81], v[88:89]
	;; [unrolled: 1-line block ×5, first 2 shown]
	v_fma_f64 v[28:29], v[78:79], s[2:3], v[42:43]
	v_fma_f64 v[30:31], v[78:79], s[4:5], v[34:35]
	;; [unrolled: 1-line block ×8, first 2 shown]
	s_mov_b32 s2, 0x372fe950
	s_mov_b32 s3, 0x3fd3c6ef
	v_add_f64 v[20:21], v[24:25], v[46:47]
	v_add_f64 v[22:23], v[26:27], v[32:33]
	v_fma_f64 v[24:25], v[40:41], s[2:3], v[28:29]
	v_fma_f64 v[36:37], v[40:41], s[2:3], v[30:31]
	v_fma_f64 v[28:29], v[80:81], s[2:3], v[34:35]
	v_fma_f64 v[32:33], v[80:81], s[2:3], v[42:43]
	v_fma_f64 v[26:27], v[86:87], s[2:3], v[76:77]
	v_fma_f64 v[30:31], v[44:45], s[2:3], v[78:79]
	v_fma_f64 v[34:35], v[44:45], s[2:3], v[82:83]
	v_fma_f64 v[38:39], v[86:87], s[2:3], v[38:39]
	ds_write_b128 v133, v[20:23]
	ds_write_b128 v133, v[24:27] offset:512
	ds_write_b128 v133, v[28:31] offset:1024
	;; [unrolled: 1-line block ×4, first 2 shown]
	s_waitcnt lgkmcnt(0)
	s_barrier
	buffer_gl0_inv
	s_and_saveexec_b32 s1, s0
	s_cbranch_execz .LBB0_51
; %bb.50:
	ds_read_b128 v[20:23], v113
	ds_read_b128 v[24:27], v113 offset:2560
	ds_read_b128 v[28:31], v113 offset:5120
	;; [unrolled: 1-line block ×6, first 2 shown]
.LBB0_51:
	s_or_b32 exec_lo, exec_lo, s1
	s_and_saveexec_b32 s1, s0
	s_cbranch_execz .LBB0_53
; %bb.52:
	s_waitcnt lgkmcnt(0)
	v_mul_f64 v[40:41], v[70:71], v[72:73]
	v_mul_f64 v[42:43], v[54:55], v[24:25]
	v_mul_f64 v[44:45], v[66:67], v[16:17]
	v_mul_f64 v[46:47], v[50:51], v[28:29]
	v_mul_f64 v[54:55], v[54:55], v[26:27]
	v_mul_f64 v[70:71], v[70:71], v[74:75]
	v_mul_f64 v[50:51], v[50:51], v[30:31]
	v_mul_f64 v[66:67], v[66:67], v[18:19]
	v_mul_f64 v[76:77], v[58:59], v[38:39]
	v_mul_f64 v[78:79], v[62:63], v[34:35]
	v_mul_f64 v[62:63], v[62:63], v[32:33]
	v_mul_f64 v[58:59], v[58:59], v[36:37]
	s_mov_b32 s2, 0xe976ee23
	s_mov_b32 s3, 0x3fe11646
	;; [unrolled: 1-line block ×10, first 2 shown]
	v_fma_f64 v[40:41], v[68:69], v[74:75], -v[40:41]
	v_fma_f64 v[26:27], v[52:53], v[26:27], -v[42:43]
	;; [unrolled: 1-line block ×4, first 2 shown]
	v_fma_f64 v[24:25], v[52:53], v[24:25], v[54:55]
	v_fma_f64 v[42:43], v[68:69], v[72:73], v[70:71]
	;; [unrolled: 1-line block ×6, first 2 shown]
	v_fma_f64 v[34:35], v[60:61], v[34:35], -v[62:63]
	v_fma_f64 v[38:39], v[56:57], v[38:39], -v[58:59]
	v_add_f64 v[44:45], v[26:27], v[40:41]
	v_add_f64 v[26:27], v[26:27], -v[40:41]
	v_add_f64 v[46:47], v[30:31], v[18:19]
	v_add_f64 v[30:31], v[30:31], -v[18:19]
	;; [unrolled: 2-line block ×4, first 2 shown]
	v_add_f64 v[52:53], v[36:37], -v[32:33]
	v_add_f64 v[18:19], v[32:33], v[36:37]
	v_add_f64 v[28:29], v[34:35], v[38:39]
	v_add_f64 v[34:35], v[38:39], -v[34:35]
	v_add_f64 v[32:33], v[46:47], v[44:45]
	v_add_f64 v[58:59], v[30:31], -v[26:27]
	;; [unrolled: 2-line block ×3, first 2 shown]
	v_add_f64 v[38:39], v[52:53], -v[16:17]
	v_add_f64 v[54:55], v[48:49], -v[18:19]
	;; [unrolled: 1-line block ×6, first 2 shown]
	v_add_f64 v[52:53], v[52:53], v[16:17]
	v_add_f64 v[64:65], v[26:27], -v[34:35]
	v_add_f64 v[44:45], v[46:47], -v[44:45]
	v_add_f64 v[32:33], v[28:29], v[32:33]
	v_add_f64 v[28:29], v[28:29], -v[46:47]
	v_add_f64 v[46:47], v[50:51], -v[48:49]
	v_add_f64 v[36:37], v[18:19], v[36:37]
	v_mul_f64 v[50:51], v[56:57], s[12:13]
	v_mul_f64 v[38:39], v[38:39], s[2:3]
	;; [unrolled: 1-line block ×5, first 2 shown]
	s_mov_b32 s2, 0x36b3c0b5
	s_mov_b32 s3, 0x3fac98ee
	;; [unrolled: 1-line block ×4, first 2 shown]
	v_add_f64 v[24:25], v[52:53], v[24:25]
	v_add_f64 v[18:19], v[22:23], v[32:33]
	;; [unrolled: 1-line block ×3, first 2 shown]
	v_mul_f64 v[30:31], v[28:29], s[2:3]
	v_mul_f64 v[34:35], v[58:59], s[12:13]
	v_add_f64 v[16:17], v[20:21], v[36:37]
	v_mul_f64 v[20:21], v[60:61], s[2:3]
	v_fma_f64 v[52:53], v[62:63], s[4:5], v[38:39]
	v_fma_f64 v[66:67], v[46:47], s[16:17], -v[48:49]
	v_fma_f64 v[28:29], v[28:29], s[2:3], v[40:41]
	v_fma_f64 v[54:55], v[64:65], s[4:5], v[42:43]
	s_mov_b32 s5, 0x3fd5d0dc
	v_fma_f64 v[40:41], v[44:45], s[16:17], -v[40:41]
	s_mov_b32 s17, 0x3fe77f67
	v_fma_f64 v[38:39], v[56:57], s[12:13], -v[38:39]
	v_fma_f64 v[50:51], v[62:63], s[4:5], -v[50:51]
	v_fma_f64 v[42:43], v[58:59], s[12:13], -v[42:43]
	v_fma_f64 v[32:33], v[32:33], s[14:15], v[18:19]
	v_add_f64 v[22:23], v[22:23], v[26:27]
	v_fma_f64 v[26:27], v[44:45], s[16:17], -v[30:31]
	v_fma_f64 v[30:31], v[60:61], s[2:3], v[48:49]
	v_fma_f64 v[36:37], v[36:37], s[14:15], v[16:17]
	v_fma_f64 v[34:35], v[64:65], s[4:5], -v[34:35]
	v_fma_f64 v[20:21], v[46:47], s[16:17], -v[20:21]
	s_mov_b32 s2, 0x37c3f68c
	s_mov_b32 s3, 0xbfdc38aa
	v_fma_f64 v[44:45], v[24:25], s[2:3], v[52:53]
	v_fma_f64 v[38:39], v[24:25], s[2:3], v[38:39]
	;; [unrolled: 1-line block ×3, first 2 shown]
	v_add_f64 v[28:29], v[28:29], v[32:33]
	v_add_f64 v[40:41], v[40:41], v[32:33]
	;; [unrolled: 1-line block ×3, first 2 shown]
	v_fma_f64 v[46:47], v[22:23], s[2:3], v[54:55]
	v_add_f64 v[52:53], v[30:31], v[36:37]
	v_fma_f64 v[50:51], v[22:23], s[2:3], v[34:35]
	v_add_f64 v[54:55], v[66:67], v[36:37]
	;; [unrolled: 2-line block ×3, first 2 shown]
	v_add_f64 v[42:43], v[28:29], -v[44:45]
	v_add_f64 v[26:27], v[24:25], v[40:41]
	v_add_f64 v[30:31], v[32:33], -v[38:39]
	v_add_f64 v[34:35], v[38:39], v[32:33]
	;; [unrolled: 2-line block ×3, first 2 shown]
	v_add_f64 v[36:37], v[50:51], v[54:55]
	v_add_f64 v[22:23], v[44:45], v[28:29]
	v_add_f64 v[32:33], v[20:21], -v[48:49]
	v_add_f64 v[28:29], v[48:49], v[20:21]
	v_add_f64 v[24:25], v[54:55], -v[50:51]
	v_add_f64 v[20:21], v[52:53], -v[46:47]
	ds_write_b128 v113, v[16:19]
	ds_write_b128 v113, v[40:43] offset:2560
	ds_write_b128 v113, v[36:39] offset:5120
	;; [unrolled: 1-line block ×6, first 2 shown]
.LBB0_53:
	s_or_b32 exec_lo, exec_lo, s1
	s_waitcnt lgkmcnt(0)
	s_barrier
	buffer_gl0_inv
	ds_read_b128 v[16:19], v113
	ds_read_b128 v[20:23], v113 offset:8960
	ds_read_b128 v[24:27], v113 offset:3584
	;; [unrolled: 1-line block ×3, first 2 shown]
	v_mad_u64_u32 v[32:33], null, s10, v100, 0
	v_mad_u64_u32 v[42:43], null, s8, v116, 0
	s_mul_i32 s1, s9, 0x230
	s_mul_hi_u32 s4, s8, 0x230
	s_mul_i32 s0, s8, 0x230
	s_mul_hi_u32 s5, s8, 0xfffffeb0
	s_add_i32 s1, s4, s1
	s_mul_i32 s10, s8, 0xfffffeb0
	s_sub_i32 s8, s5, s8
	s_lshl_b64 s[4:5], s[0:1], 4
	s_mov_b32 s2, 0x1d41d41d
	s_mov_b32 s3, 0x3f4d41d4
	s_waitcnt lgkmcnt(3)
	v_mul_f64 v[34:35], v[2:3], v[18:19]
	v_mul_f64 v[2:3], v[2:3], v[16:17]
	s_waitcnt lgkmcnt(2)
	v_mul_f64 v[36:37], v[6:7], v[22:23]
	v_mul_f64 v[6:7], v[6:7], v[20:21]
	;; [unrolled: 3-line block ×4, first 2 shown]
	v_mad_u64_u32 v[44:45], null, s11, v100, v[33:34]
	v_fma_f64 v[16:17], v[0:1], v[16:17], v[34:35]
	v_fma_f64 v[0:1], v[0:1], v[18:19], -v[2:3]
	v_fma_f64 v[18:19], v[4:5], v[20:21], v[36:37]
	v_fma_f64 v[20:21], v[4:5], v[22:23], -v[6:7]
	;; [unrolled: 2-line block ×3, first 2 shown]
	v_mad_u64_u32 v[45:46], null, s9, v116, v[43:44]
	v_fma_f64 v[26:27], v[12:13], v[28:29], v[40:41]
	v_fma_f64 v[28:29], v[12:13], v[30:31], -v[14:15]
	v_mov_b32_e32 v33, v44
	s_mulk_i32 s9, 0xfeb0
	s_add_i32 s11, s8, s9
	v_mov_b32_e32 v43, v45
	v_lshlrev_b64 v[2:3], 4, v[32:33]
	v_lshlrev_b64 v[30:31], 4, v[42:43]
	v_add_co_u32 v32, s0, s6, v2
	v_add_co_ci_u32_e64 v33, s0, s7, v3, s0
	v_mul_f64 v[2:3], v[16:17], s[2:3]
	v_mul_f64 v[4:5], v[0:1], s[2:3]
	;; [unrolled: 1-line block ×3, first 2 shown]
	v_add_co_u32 v18, s0, v32, v30
	v_mul_f64 v[8:9], v[20:21], s[2:3]
	v_mul_f64 v[10:11], v[22:23], s[2:3]
	;; [unrolled: 1-line block ×3, first 2 shown]
	v_add_co_ci_u32_e64 v19, s0, v33, v31, s0
	v_mul_f64 v[14:15], v[26:27], s[2:3]
	v_mul_f64 v[16:17], v[28:29], s[2:3]
	v_add_co_u32 v20, s0, v18, s4
	v_add_co_ci_u32_e64 v21, s0, s5, v19, s0
	s_lshl_b64 s[6:7], s[10:11], 4
	v_add_co_u32 v22, s0, v20, s6
	v_add_co_ci_u32_e64 v23, s0, s7, v21, s0
	v_add_co_u32 v0, s0, v22, s4
	v_add_co_ci_u32_e64 v1, s0, s5, v23, s0
	global_store_dwordx4 v[18:19], v[2:5], off
	global_store_dwordx4 v[20:21], v[6:9], off
	;; [unrolled: 1-line block ×4, first 2 shown]
	s_and_b32 exec_lo, exec_lo, vcc_lo
	s_cbranch_execz .LBB0_55
; %bb.54:
	v_add_co_u32 v2, vcc_lo, 0x1800, v114
	v_add_co_ci_u32_e32 v3, vcc_lo, 0, v115, vcc_lo
	v_add_co_u32 v6, vcc_lo, 0x3800, v114
	v_add_co_ci_u32_e32 v7, vcc_lo, 0, v115, vcc_lo
	v_add_co_u32 v0, vcc_lo, v0, s6
	s_clause 0x1
	global_load_dwordx4 v[2:5], v[2:3], off offset:1024
	global_load_dwordx4 v[6:9], v[6:7], off offset:1792
	ds_read_b128 v[10:13], v113 offset:7168
	ds_read_b128 v[14:17], v113 offset:16128
	v_add_co_ci_u32_e32 v1, vcc_lo, s7, v1, vcc_lo
	s_waitcnt vmcnt(1) lgkmcnt(1)
	v_mul_f64 v[18:19], v[12:13], v[4:5]
	v_mul_f64 v[4:5], v[10:11], v[4:5]
	s_waitcnt vmcnt(0) lgkmcnt(0)
	v_mul_f64 v[20:21], v[16:17], v[8:9]
	v_mul_f64 v[8:9], v[14:15], v[8:9]
	v_fma_f64 v[10:11], v[10:11], v[2:3], v[18:19]
	v_fma_f64 v[4:5], v[2:3], v[12:13], -v[4:5]
	v_fma_f64 v[12:13], v[14:15], v[6:7], v[20:21]
	v_fma_f64 v[8:9], v[6:7], v[16:17], -v[8:9]
	v_mul_f64 v[2:3], v[10:11], s[2:3]
	v_mul_f64 v[4:5], v[4:5], s[2:3]
	v_mul_f64 v[6:7], v[12:13], s[2:3]
	v_mul_f64 v[8:9], v[8:9], s[2:3]
	v_add_co_u32 v10, vcc_lo, v0, s4
	v_add_co_ci_u32_e32 v11, vcc_lo, s5, v1, vcc_lo
	global_store_dwordx4 v[0:1], v[2:5], off
	global_store_dwordx4 v[10:11], v[6:9], off
.LBB0_55:
	s_endpgm
	.section	.rodata,"a",@progbits
	.p2align	6, 0x0
	.amdhsa_kernel bluestein_single_back_len1120_dim1_dp_op_CI_CI
		.amdhsa_group_segment_fixed_size 17920
		.amdhsa_private_segment_fixed_size 0
		.amdhsa_kernarg_size 104
		.amdhsa_user_sgpr_count 6
		.amdhsa_user_sgpr_private_segment_buffer 1
		.amdhsa_user_sgpr_dispatch_ptr 0
		.amdhsa_user_sgpr_queue_ptr 0
		.amdhsa_user_sgpr_kernarg_segment_ptr 1
		.amdhsa_user_sgpr_dispatch_id 0
		.amdhsa_user_sgpr_flat_scratch_init 0
		.amdhsa_user_sgpr_private_segment_size 0
		.amdhsa_wavefront_size32 1
		.amdhsa_uses_dynamic_stack 0
		.amdhsa_system_sgpr_private_segment_wavefront_offset 0
		.amdhsa_system_sgpr_workgroup_id_x 1
		.amdhsa_system_sgpr_workgroup_id_y 0
		.amdhsa_system_sgpr_workgroup_id_z 0
		.amdhsa_system_sgpr_workgroup_info 0
		.amdhsa_system_vgpr_workitem_id 0
		.amdhsa_next_free_vgpr 146
		.amdhsa_next_free_sgpr 18
		.amdhsa_reserve_vcc 1
		.amdhsa_reserve_flat_scratch 0
		.amdhsa_float_round_mode_32 0
		.amdhsa_float_round_mode_16_64 0
		.amdhsa_float_denorm_mode_32 3
		.amdhsa_float_denorm_mode_16_64 3
		.amdhsa_dx10_clamp 1
		.amdhsa_ieee_mode 1
		.amdhsa_fp16_overflow 0
		.amdhsa_workgroup_processor_mode 1
		.amdhsa_memory_ordered 1
		.amdhsa_forward_progress 0
		.amdhsa_shared_vgpr_count 0
		.amdhsa_exception_fp_ieee_invalid_op 0
		.amdhsa_exception_fp_denorm_src 0
		.amdhsa_exception_fp_ieee_div_zero 0
		.amdhsa_exception_fp_ieee_overflow 0
		.amdhsa_exception_fp_ieee_underflow 0
		.amdhsa_exception_fp_ieee_inexact 0
		.amdhsa_exception_int_div_zero 0
	.end_amdhsa_kernel
	.text
.Lfunc_end0:
	.size	bluestein_single_back_len1120_dim1_dp_op_CI_CI, .Lfunc_end0-bluestein_single_back_len1120_dim1_dp_op_CI_CI
                                        ; -- End function
	.section	.AMDGPU.csdata,"",@progbits
; Kernel info:
; codeLenInByte = 9828
; NumSgprs: 20
; NumVgprs: 146
; ScratchSize: 0
; MemoryBound: 0
; FloatMode: 240
; IeeeMode: 1
; LDSByteSize: 17920 bytes/workgroup (compile time only)
; SGPRBlocks: 2
; VGPRBlocks: 18
; NumSGPRsForWavesPerEU: 20
; NumVGPRsForWavesPerEU: 146
; Occupancy: 6
; WaveLimiterHint : 1
; COMPUTE_PGM_RSRC2:SCRATCH_EN: 0
; COMPUTE_PGM_RSRC2:USER_SGPR: 6
; COMPUTE_PGM_RSRC2:TRAP_HANDLER: 0
; COMPUTE_PGM_RSRC2:TGID_X_EN: 1
; COMPUTE_PGM_RSRC2:TGID_Y_EN: 0
; COMPUTE_PGM_RSRC2:TGID_Z_EN: 0
; COMPUTE_PGM_RSRC2:TIDIG_COMP_CNT: 0
	.text
	.p2alignl 6, 3214868480
	.fill 48, 4, 3214868480
	.type	__hip_cuid_e21732412f5e0a15,@object ; @__hip_cuid_e21732412f5e0a15
	.section	.bss,"aw",@nobits
	.globl	__hip_cuid_e21732412f5e0a15
__hip_cuid_e21732412f5e0a15:
	.byte	0                               ; 0x0
	.size	__hip_cuid_e21732412f5e0a15, 1

	.ident	"AMD clang version 19.0.0git (https://github.com/RadeonOpenCompute/llvm-project roc-6.4.0 25133 c7fe45cf4b819c5991fe208aaa96edf142730f1d)"
	.section	".note.GNU-stack","",@progbits
	.addrsig
	.addrsig_sym __hip_cuid_e21732412f5e0a15
	.amdgpu_metadata
---
amdhsa.kernels:
  - .args:
      - .actual_access:  read_only
        .address_space:  global
        .offset:         0
        .size:           8
        .value_kind:     global_buffer
      - .actual_access:  read_only
        .address_space:  global
        .offset:         8
        .size:           8
        .value_kind:     global_buffer
      - .actual_access:  read_only
        .address_space:  global
        .offset:         16
        .size:           8
        .value_kind:     global_buffer
      - .actual_access:  read_only
        .address_space:  global
        .offset:         24
        .size:           8
        .value_kind:     global_buffer
      - .actual_access:  read_only
        .address_space:  global
        .offset:         32
        .size:           8
        .value_kind:     global_buffer
      - .offset:         40
        .size:           8
        .value_kind:     by_value
      - .address_space:  global
        .offset:         48
        .size:           8
        .value_kind:     global_buffer
      - .address_space:  global
        .offset:         56
        .size:           8
        .value_kind:     global_buffer
      - .address_space:  global
        .offset:         64
        .size:           8
        .value_kind:     global_buffer
      - .address_space:  global
        .offset:         72
        .size:           8
        .value_kind:     global_buffer
      - .offset:         80
        .size:           4
        .value_kind:     by_value
      - .address_space:  global
        .offset:         88
        .size:           8
        .value_kind:     global_buffer
      - .address_space:  global
        .offset:         96
        .size:           8
        .value_kind:     global_buffer
    .group_segment_fixed_size: 17920
    .kernarg_segment_align: 8
    .kernarg_segment_size: 104
    .language:       OpenCL C
    .language_version:
      - 2
      - 0
    .max_flat_workgroup_size: 224
    .name:           bluestein_single_back_len1120_dim1_dp_op_CI_CI
    .private_segment_fixed_size: 0
    .sgpr_count:     20
    .sgpr_spill_count: 0
    .symbol:         bluestein_single_back_len1120_dim1_dp_op_CI_CI.kd
    .uniform_work_group_size: 1
    .uses_dynamic_stack: false
    .vgpr_count:     146
    .vgpr_spill_count: 0
    .wavefront_size: 32
    .workgroup_processor_mode: 1
amdhsa.target:   amdgcn-amd-amdhsa--gfx1030
amdhsa.version:
  - 1
  - 2
...

	.end_amdgpu_metadata
